;; amdgpu-corpus repo=ROCm/rocFFT kind=compiled arch=gfx906 opt=O3
	.text
	.amdgcn_target "amdgcn-amd-amdhsa--gfx906"
	.amdhsa_code_object_version 6
	.protected	fft_rtc_back_len84_factors_7_2_6_wgs_336_tpt_14_sp_ip_CI_sbcc_twdbase8_3step_dirReg_intrinsicRead ; -- Begin function fft_rtc_back_len84_factors_7_2_6_wgs_336_tpt_14_sp_ip_CI_sbcc_twdbase8_3step_dirReg_intrinsicRead
	.globl	fft_rtc_back_len84_factors_7_2_6_wgs_336_tpt_14_sp_ip_CI_sbcc_twdbase8_3step_dirReg_intrinsicRead
	.p2align	8
	.type	fft_rtc_back_len84_factors_7_2_6_wgs_336_tpt_14_sp_ip_CI_sbcc_twdbase8_3step_dirReg_intrinsicRead,@function
fft_rtc_back_len84_factors_7_2_6_wgs_336_tpt_14_sp_ip_CI_sbcc_twdbase8_3step_dirReg_intrinsicRead: ; @fft_rtc_back_len84_factors_7_2_6_wgs_336_tpt_14_sp_ip_CI_sbcc_twdbase8_3step_dirReg_intrinsicRead
; %bb.0:
	s_load_dwordx4 s[0:3], s[4:5], 0x18
	s_mov_b32 s7, 0
	s_mov_b64 s[24:25], 0
	s_waitcnt lgkmcnt(0)
	s_load_dwordx2 s[14:15], s[0:1], 0x8
	s_waitcnt lgkmcnt(0)
	s_add_u32 s8, s14, -1
	s_addc_u32 s9, s15, -1
	s_add_u32 s10, 0, 0xaaaa0000
	s_addc_u32 s11, 0, 42
	s_mul_hi_u32 s13, s10, 0xffffffe8
	s_add_i32 s11, s11, 0xaaaaa80
	s_sub_i32 s13, s13, s10
	s_mul_i32 s18, s11, 0xffffffe8
	s_mul_i32 s12, s10, 0xffffffe8
	s_add_i32 s13, s13, s18
	s_mul_hi_u32 s16, s11, s12
	s_mul_i32 s17, s11, s12
	s_mul_i32 s19, s10, s13
	s_mul_hi_u32 s12, s10, s12
	s_mul_hi_u32 s18, s10, s13
	s_add_u32 s12, s12, s19
	s_addc_u32 s18, 0, s18
	s_add_u32 s12, s12, s17
	s_mul_hi_u32 s19, s11, s13
	s_addc_u32 s12, s18, s16
	s_addc_u32 s16, s19, 0
	s_mul_i32 s13, s11, s13
	s_add_u32 s12, s12, s13
	v_mov_b32_e32 v1, s12
	s_addc_u32 s13, 0, s16
	v_add_co_u32_e32 v1, vcc, s10, v1
	s_cmp_lg_u64 vcc, 0
	s_addc_u32 s10, s11, s13
	v_readfirstlane_b32 s13, v1
	s_mul_i32 s12, s8, s10
	s_mul_hi_u32 s16, s8, s13
	s_mul_hi_u32 s11, s8, s10
	s_add_u32 s12, s16, s12
	s_addc_u32 s11, 0, s11
	s_mul_hi_u32 s17, s9, s13
	s_mul_i32 s13, s9, s13
	s_add_u32 s12, s12, s13
	s_mul_hi_u32 s16, s9, s10
	s_addc_u32 s11, s11, s17
	s_addc_u32 s12, s16, 0
	s_mul_i32 s10, s9, s10
	s_add_u32 s10, s11, s10
	s_addc_u32 s11, 0, s12
	s_add_u32 s12, s10, 1
	s_addc_u32 s13, s11, 0
	s_add_u32 s16, s10, 2
	s_mul_i32 s18, s11, 24
	s_mul_hi_u32 s19, s10, 24
	s_addc_u32 s17, s11, 0
	s_add_i32 s19, s19, s18
	s_mul_i32 s18, s10, 24
	v_mov_b32_e32 v1, s18
	v_sub_co_u32_e32 v1, vcc, s8, v1
	s_cmp_lg_u64 vcc, 0
	s_subb_u32 s8, s9, s19
	v_subrev_co_u32_e32 v2, vcc, 24, v1
	s_cmp_lg_u64 vcc, 0
	s_subb_u32 s9, s8, 0
	v_readfirstlane_b32 s18, v2
	s_cmp_gt_u32 s18, 23
	s_cselect_b32 s18, -1, 0
	s_cmp_eq_u32 s9, 0
	s_cselect_b32 s9, s18, -1
	s_cmp_lg_u32 s9, 0
	s_cselect_b32 s9, s16, s12
	s_cselect_b32 s12, s17, s13
	v_readfirstlane_b32 s13, v1
	s_cmp_gt_u32 s13, 23
	s_cselect_b32 s13, -1, 0
	s_cmp_eq_u32 s8, 0
	s_cselect_b32 s8, s13, -1
	s_cmp_lg_u32 s8, 0
	s_cselect_b32 s9, s9, s10
	s_cselect_b32 s8, s12, s11
	s_add_u32 s22, s9, 1
	s_addc_u32 s23, s8, 0
	v_mov_b32_e32 v1, s22
	v_mov_b32_e32 v2, s23
	v_cmp_lt_u64_e32 vcc, s[6:7], v[1:2]
	s_cbranch_vccnz .LBB0_2
; %bb.1:
	v_cvt_f32_u32_e32 v1, s22
	s_sub_i32 s8, 0, s22
	s_mov_b32 s25, s7
	v_rcp_iflag_f32_e32 v1, v1
	v_mul_f32_e32 v1, 0x4f7ffffe, v1
	v_cvt_u32_f32_e32 v1, v1
	v_readfirstlane_b32 s9, v1
	s_mul_i32 s8, s8, s9
	s_mul_hi_u32 s8, s9, s8
	s_add_i32 s9, s9, s8
	s_mul_hi_u32 s8, s6, s9
	s_mul_i32 s10, s8, s22
	s_sub_i32 s10, s6, s10
	s_add_i32 s9, s8, 1
	s_sub_i32 s11, s10, s22
	s_cmp_ge_u32 s10, s22
	s_cselect_b32 s8, s9, s8
	s_cselect_b32 s10, s11, s10
	s_add_i32 s9, s8, 1
	s_cmp_ge_u32 s10, s22
	s_cselect_b32 s24, s9, s8
.LBB0_2:
	s_load_dwordx2 s[12:13], s[4:5], 0x58
	s_load_dwordx4 s[8:11], s[2:3], 0x0
	s_load_dwordx2 s[20:21], s[4:5], 0x0
	s_load_dwordx4 s[16:19], s[4:5], 0x8
	s_mul_i32 s4, s24, s23
	s_mul_hi_u32 s5, s24, s22
	s_add_i32 s5, s5, s4
	s_mul_i32 s4, s24, s22
	s_sub_u32 s38, s6, s4
	s_subb_u32 s4, 0, s5
	s_mul_i32 s4, s4, 24
	s_mul_hi_u32 s33, s38, 24
	s_add_i32 s33, s33, s4
	s_mul_i32 s38, s38, 24
	s_waitcnt lgkmcnt(0)
	s_mul_i32 s4, s10, s33
	s_mul_hi_u32 s5, s10, s38
	s_add_i32 s4, s5, s4
	s_mul_i32 s5, s11, s38
	s_add_i32 s39, s4, s5
	v_cmp_lt_u64_e64 s[4:5], s[18:19], 3
	s_mul_i32 s40, s10, s38
	s_and_b64 vcc, exec, s[4:5]
	s_cbranch_vccnz .LBB0_12
; %bb.3:
	s_add_u32 s4, s2, 16
	s_addc_u32 s5, s3, 0
	s_add_u32 s26, s0, 16
	v_mov_b32_e32 v1, s18
	s_addc_u32 s27, s1, 0
	s_mov_b64 s[28:29], 2
	s_mov_b32 s30, 0
	v_mov_b32_e32 v2, s19
.LBB0_4:                                ; =>This Inner Loop Header: Depth=1
	s_load_dwordx2 s[34:35], s[26:27], 0x0
	s_waitcnt lgkmcnt(0)
	s_or_b64 s[0:1], s[24:25], s[34:35]
	s_mov_b32 s31, s1
	s_cmp_lg_u64 s[30:31], 0
	s_cbranch_scc0 .LBB0_9
; %bb.5:                                ;   in Loop: Header=BB0_4 Depth=1
	v_cvt_f32_u32_e32 v3, s34
	v_cvt_f32_u32_e32 v4, s35
	s_sub_u32 s0, 0, s34
	s_subb_u32 s1, 0, s35
	v_mac_f32_e32 v3, 0x4f800000, v4
	v_rcp_f32_e32 v3, v3
	v_mul_f32_e32 v3, 0x5f7ffffc, v3
	v_mul_f32_e32 v4, 0x2f800000, v3
	v_trunc_f32_e32 v4, v4
	v_mac_f32_e32 v3, 0xcf800000, v4
	v_cvt_u32_f32_e32 v4, v4
	v_cvt_u32_f32_e32 v3, v3
	v_readfirstlane_b32 s31, v4
	v_readfirstlane_b32 s36, v3
	s_mul_i32 s37, s0, s31
	s_mul_hi_u32 s42, s0, s36
	s_mul_i32 s41, s1, s36
	s_add_i32 s37, s42, s37
	s_mul_i32 s43, s0, s36
	s_add_i32 s37, s37, s41
	s_mul_hi_u32 s41, s36, s37
	s_mul_i32 s42, s36, s37
	s_mul_hi_u32 s36, s36, s43
	s_add_u32 s36, s36, s42
	s_addc_u32 s41, 0, s41
	s_mul_hi_u32 s44, s31, s43
	s_mul_i32 s43, s31, s43
	s_add_u32 s36, s36, s43
	s_mul_hi_u32 s42, s31, s37
	s_addc_u32 s36, s41, s44
	s_addc_u32 s41, s42, 0
	s_mul_i32 s37, s31, s37
	s_add_u32 s36, s36, s37
	s_addc_u32 s37, 0, s41
	v_add_co_u32_e32 v3, vcc, s36, v3
	s_cmp_lg_u64 vcc, 0
	s_addc_u32 s31, s31, s37
	v_readfirstlane_b32 s37, v3
	s_mul_i32 s36, s0, s31
	s_mul_hi_u32 s41, s0, s37
	s_add_i32 s36, s41, s36
	s_mul_i32 s1, s1, s37
	s_add_i32 s36, s36, s1
	s_mul_i32 s0, s0, s37
	s_mul_hi_u32 s41, s31, s0
	s_mul_i32 s42, s31, s0
	s_mul_i32 s44, s37, s36
	s_mul_hi_u32 s0, s37, s0
	s_mul_hi_u32 s43, s37, s36
	s_add_u32 s0, s0, s44
	s_addc_u32 s37, 0, s43
	s_add_u32 s0, s0, s42
	s_mul_hi_u32 s1, s31, s36
	s_addc_u32 s0, s37, s41
	s_addc_u32 s1, s1, 0
	s_mul_i32 s36, s31, s36
	s_add_u32 s0, s0, s36
	s_addc_u32 s1, 0, s1
	v_add_co_u32_e32 v3, vcc, s0, v3
	s_cmp_lg_u64 vcc, 0
	s_addc_u32 s0, s31, s1
	v_readfirstlane_b32 s36, v3
	s_mul_i32 s31, s24, s0
	s_mul_hi_u32 s37, s24, s36
	s_mul_hi_u32 s1, s24, s0
	s_add_u32 s31, s37, s31
	s_addc_u32 s1, 0, s1
	s_mul_hi_u32 s41, s25, s36
	s_mul_i32 s36, s25, s36
	s_add_u32 s31, s31, s36
	s_mul_hi_u32 s37, s25, s0
	s_addc_u32 s1, s1, s41
	s_addc_u32 s31, s37, 0
	s_mul_i32 s0, s25, s0
	s_add_u32 s36, s1, s0
	s_addc_u32 s31, 0, s31
	s_mul_i32 s0, s34, s31
	s_mul_hi_u32 s1, s34, s36
	s_add_i32 s0, s1, s0
	s_mul_i32 s1, s35, s36
	s_add_i32 s37, s0, s1
	s_mul_i32 s1, s34, s36
	v_mov_b32_e32 v3, s1
	s_sub_i32 s0, s25, s37
	v_sub_co_u32_e32 v3, vcc, s24, v3
	s_cmp_lg_u64 vcc, 0
	s_subb_u32 s41, s0, s35
	v_subrev_co_u32_e64 v4, s[0:1], s34, v3
	s_cmp_lg_u64 s[0:1], 0
	s_subb_u32 s0, s41, 0
	s_cmp_ge_u32 s0, s35
	v_readfirstlane_b32 s41, v4
	s_cselect_b32 s1, -1, 0
	s_cmp_ge_u32 s41, s34
	s_cselect_b32 s41, -1, 0
	s_cmp_eq_u32 s0, s35
	s_cselect_b32 s0, s41, s1
	s_add_u32 s1, s36, 1
	s_addc_u32 s41, s31, 0
	s_add_u32 s42, s36, 2
	s_addc_u32 s43, s31, 0
	s_cmp_lg_u32 s0, 0
	s_cselect_b32 s0, s42, s1
	s_cselect_b32 s1, s43, s41
	s_cmp_lg_u64 vcc, 0
	s_subb_u32 s37, s25, s37
	s_cmp_ge_u32 s37, s35
	v_readfirstlane_b32 s42, v3
	s_cselect_b32 s41, -1, 0
	s_cmp_ge_u32 s42, s34
	s_cselect_b32 s42, -1, 0
	s_cmp_eq_u32 s37, s35
	s_cselect_b32 s37, s42, s41
	s_cmp_lg_u32 s37, 0
	s_cselect_b32 s1, s1, s31
	s_cselect_b32 s0, s0, s36
	s_cbranch_execnz .LBB0_7
.LBB0_6:                                ;   in Loop: Header=BB0_4 Depth=1
	v_cvt_f32_u32_e32 v3, s34
	s_sub_i32 s0, 0, s34
	v_rcp_iflag_f32_e32 v3, v3
	v_mul_f32_e32 v3, 0x4f7ffffe, v3
	v_cvt_u32_f32_e32 v3, v3
	v_readfirstlane_b32 s1, v3
	s_mul_i32 s0, s0, s1
	s_mul_hi_u32 s0, s1, s0
	s_add_i32 s1, s1, s0
	s_mul_hi_u32 s0, s24, s1
	s_mul_i32 s31, s0, s34
	s_sub_i32 s31, s24, s31
	s_add_i32 s1, s0, 1
	s_sub_i32 s36, s31, s34
	s_cmp_ge_u32 s31, s34
	s_cselect_b32 s0, s1, s0
	s_cselect_b32 s31, s36, s31
	s_add_i32 s1, s0, 1
	s_cmp_ge_u32 s31, s34
	s_cselect_b32 s0, s1, s0
	s_mov_b32 s1, s30
.LBB0_7:                                ;   in Loop: Header=BB0_4 Depth=1
	s_mul_i32 s23, s34, s23
	s_mul_hi_u32 s31, s34, s22
	s_add_i32 s23, s31, s23
	s_mul_i32 s31, s35, s22
	s_add_i32 s23, s23, s31
	s_mul_i32 s31, s0, s35
	s_mul_hi_u32 s35, s0, s34
	s_load_dwordx2 s[36:37], s[4:5], 0x0
	s_add_i32 s31, s35, s31
	s_mul_i32 s35, s1, s34
	s_mul_i32 s22, s34, s22
	s_add_i32 s31, s31, s35
	s_mul_i32 s34, s0, s34
	s_sub_u32 s24, s24, s34
	s_subb_u32 s25, s25, s31
	s_waitcnt lgkmcnt(0)
	s_mul_i32 s25, s36, s25
	s_mul_hi_u32 s31, s36, s24
	s_add_i32 s25, s31, s25
	s_mul_i32 s31, s37, s24
	s_add_i32 s25, s25, s31
	s_mul_i32 s24, s36, s24
	s_add_u32 s40, s24, s40
	s_addc_u32 s39, s25, s39
	s_add_u32 s28, s28, 1
	s_addc_u32 s29, s29, 0
	;; [unrolled: 2-line block ×3, first 2 shown]
	v_cmp_ge_u64_e32 vcc, s[28:29], v[1:2]
	s_add_u32 s26, s26, 8
	s_addc_u32 s27, s27, 0
	s_cbranch_vccnz .LBB0_10
; %bb.8:                                ;   in Loop: Header=BB0_4 Depth=1
	s_mov_b64 s[24:25], s[0:1]
	s_branch .LBB0_4
.LBB0_9:                                ;   in Loop: Header=BB0_4 Depth=1
                                        ; implicit-def: $sgpr0_sgpr1
	s_branch .LBB0_6
.LBB0_10:
	v_mov_b32_e32 v1, s22
	v_mov_b32_e32 v2, s23
	v_cmp_lt_u64_e32 vcc, s[6:7], v[1:2]
	s_mov_b64 s[24:25], 0
	s_cbranch_vccnz .LBB0_12
; %bb.11:
	v_cvt_f32_u32_e32 v1, s22
	s_sub_i32 s0, 0, s22
	v_rcp_iflag_f32_e32 v1, v1
	v_mul_f32_e32 v1, 0x4f7ffffe, v1
	v_cvt_u32_f32_e32 v1, v1
	v_readfirstlane_b32 s1, v1
	s_mul_i32 s0, s0, s1
	s_mul_hi_u32 s0, s1, s0
	s_add_i32 s1, s1, s0
	s_mul_hi_u32 s0, s6, s1
	s_mul_i32 s4, s0, s22
	s_sub_i32 s4, s6, s4
	s_add_i32 s1, s0, 1
	s_sub_i32 s5, s4, s22
	s_cmp_ge_u32 s4, s22
	s_cselect_b32 s0, s1, s0
	s_cselect_b32 s4, s5, s4
	s_add_i32 s1, s0, 1
	s_cmp_ge_u32 s4, s22
	s_cselect_b32 s24, s1, s0
.LBB0_12:
	s_lshl_b64 s[0:1], s[18:19], 3
	s_add_u32 s0, s2, s0
	s_addc_u32 s1, s3, s1
	s_load_dwordx2 s[0:1], s[0:1], 0x0
	v_mul_u32_u24_e32 v1, 0xaab, v0
	v_lshrrev_b32_e32 v20, 16, v1
	v_mul_lo_u16_e32 v1, 24, v20
	v_sub_u16_e32 v18, v0, v1
	s_waitcnt lgkmcnt(0)
	s_mul_i32 s1, s1, s24
	s_mul_hi_u32 s2, s0, s24
	s_mul_i32 s0, s0, s24
	s_add_i32 s2, s2, s1
	s_add_u32 s6, s0, s40
	s_addc_u32 s7, s2, s39
	v_mov_b32_e32 v1, s33
	v_add_co_u32_e32 v11, vcc, s38, v18
	v_addc_co_u32_e32 v12, vcc, 0, v1, vcc
	s_add_u32 s0, s38, 24
	v_mov_b32_e32 v1, s14
	s_addc_u32 s1, s33, 0
	v_mov_b32_e32 v2, s15
	v_cmp_le_u64_e32 vcc, s[0:1], v[1:2]
	v_mad_u64_u32 v[9:10], s[0:1], s10, v18, 0
	s_movk_i32 s0, 0x11f
	v_cmp_lt_u32_e64 s[2:3], s0, v0
	s_movk_i32 s0, 0x120
	v_cmp_gt_u32_e64 s[4:5], s0, v0
	v_cmp_gt_u64_e64 s[0:1], s[14:15], v[11:12]
	v_cndmask_b32_e64 v2, 0, 1, s[4:5]
	v_cndmask_b32_e64 v3, 0, 1, s[0:1]
	s_or_b64 s[2:3], s[2:3], vcc
	v_mul_lo_u32 v1, s8, v20
	v_cndmask_b32_e64 v2, v3, v2, s[2:3]
	v_add_u32_e32 v3, 12, v20
	v_mul_lo_u32 v3, s8, v3
	v_and_b32_e32 v2, 1, v2
	v_add_lshl_u32 v1, v9, v1, 3
	v_cmp_eq_u32_e64 s[2:3], 1, v2
	v_add_u32_e32 v2, 24, v20
	v_cndmask_b32_e64 v12, -1, v1, s[2:3]
	v_add_lshl_u32 v1, v9, v3, 3
	v_mul_lo_u32 v2, s8, v2
	v_add_u32_e32 v3, 36, v20
	v_mul_lo_u32 v3, s8, v3
	v_cndmask_b32_e64 v13, -1, v1, s[2:3]
	v_add_lshl_u32 v1, v9, v2, 3
	v_cndmask_b32_e64 v14, -1, v1, s[2:3]
	v_add_lshl_u32 v1, v9, v3, 3
	s_lshl_b32 s10, s6, 3
	s_mov_b32 s15, 0x20000
	s_mov_b32 s14, -2
	v_cndmask_b32_e64 v15, -1, v1, s[2:3]
	v_add_u32_e32 v1, 48, v20
	v_mul_lo_u32 v16, s8, v1
	buffer_load_dwordx2 v[1:2], v12, s[12:15], s10 offen
	buffer_load_dwordx2 v[7:8], v13, s[12:15], s10 offen
	;; [unrolled: 1-line block ×4, first 2 shown]
	v_add_u32_e32 v13, 60, v20
	v_mul_lo_u32 v13, s8, v13
	v_add_u32_e32 v14, 0x48, v20
	v_mul_lo_u32 v14, s8, v14
	v_add_lshl_u32 v12, v9, v16, 3
	v_cndmask_b32_e64 v19, -1, v12, s[2:3]
	v_add_lshl_u32 v12, v9, v13, 3
	v_cndmask_b32_e64 v21, -1, v12, s[2:3]
	;; [unrolled: 2-line block ×3, first 2 shown]
	buffer_load_dwordx2 v[14:15], v19, s[12:15], s10 offen
	buffer_load_dwordx2 v[12:13], v21, s[12:15], s10 offen
	;; [unrolled: 1-line block ×3, first 2 shown]
	v_lshlrev_b32_e32 v22, 3, v18
	s_and_saveexec_b64 s[2:3], s[4:5]
	s_cbranch_execz .LBB0_14
; %bb.13:
	s_waitcnt vmcnt(0)
	v_sub_f32_e32 v19, v7, v16
	v_sub_f32_e32 v21, v14, v5
	v_add_f32_e32 v27, v8, v17
	v_add_f32_e32 v7, v7, v16
	;; [unrolled: 1-line block ×5, first 2 shown]
	v_sub_f32_e32 v8, v8, v17
	v_sub_f32_e32 v17, v27, v16
	v_add_f32_e32 v28, v14, v27
	v_sub_f32_e32 v24, v3, v12
	v_mul_f32_e32 v17, 0x3f4a47b2, v17
	v_sub_f32_e32 v6, v15, v6
	v_sub_f32_e32 v15, v16, v14
	v_add_f32_e32 v16, v16, v28
	v_add_f32_e32 v3, v3, v12
	;; [unrolled: 1-line block ×4, first 2 shown]
	v_mov_b32_e32 v28, v17
	v_sub_f32_e32 v4, v4, v13
	v_add_f32_e32 v12, v5, v12
	v_mul_f32_e32 v13, 0x3d64c772, v15
	v_fmac_f32_e32 v28, 0x3d64c772, v15
	v_mov_b32_e32 v15, v2
	v_sub_f32_e32 v23, v19, v21
	v_sub_f32_e32 v25, v21, v24
	v_add_f32_e32 v21, v21, v24
	v_add_f32_e32 v1, v1, v12
	v_fmac_f32_e32 v15, 0xbf955555, v16
	v_mul_f32_e32 v25, 0x3f08b237, v25
	v_add_f32_e32 v21, v21, v19
	v_add_f32_e32 v16, v28, v15
	v_mov_b32_e32 v28, v1
	v_sub_f32_e32 v19, v24, v19
	v_mov_b32_e32 v26, v25
	v_fmac_f32_e32 v28, 0xbf955555, v12
	v_sub_f32_e32 v12, v7, v5
	v_sub_f32_e32 v5, v5, v3
	v_mul_f32_e32 v24, 0xbf5ff5aa, v19
	s_mov_b32 s4, 0x3eae86e6
	v_sub_f32_e32 v7, v3, v7
	v_add_f32_e32 v3, v6, v4
	v_fmac_f32_e32 v26, 0xbeae86e6, v23
	v_fma_f32 v23, v23, s4, -v24
	v_sub_f32_e32 v24, v8, v6
	v_add_f32_e32 v30, v3, v8
	v_sub_f32_e32 v8, v4, v8
	v_sub_f32_e32 v14, v14, v27
	;; [unrolled: 1-line block ×3, first 2 shown]
	s_mov_b32 s5, 0xbf3bfb3b
	v_mul_f32_e32 v4, 0xbf5ff5aa, v8
	v_fma_f32 v3, v14, s5, -v17
	v_fma_f32 v17, v24, s4, -v4
	s_mov_b32 s4, 0x3f3bfb3b
	v_mul_f32_e32 v27, 0x3f08b237, v27
	v_fma_f32 v6, v14, s4, -v13
	v_mul_f32_e32 v12, 0x3f4a47b2, v12
	s_mov_b32 s10, 0xbf5ff5aa
	v_mov_b32_e32 v29, v27
	v_add_f32_e32 v14, v3, v15
	v_add_f32_e32 v13, v6, v15
	v_mov_b32_e32 v3, v12
	v_mul_f32_e32 v15, 0x3d64c772, v5
	v_fma_f32 v19, v19, s10, -v25
	v_fmac_f32_e32 v29, 0xbeae86e6, v24
	v_fmac_f32_e32 v3, 0x3d64c772, v5
	;; [unrolled: 1-line block ×3, first 2 shown]
	v_fma_f32 v5, v7, s5, -v12
	v_fma_f32 v12, v8, s10, -v27
	;; [unrolled: 1-line block ×3, first 2 shown]
	v_fmac_f32_e32 v26, 0xbee1c552, v21
	v_add_f32_e32 v24, v3, v28
	v_fmac_f32_e32 v29, 0xbee1c552, v30
	v_fmac_f32_e32 v23, 0xbee1c552, v21
	v_add_f32_e32 v21, v5, v28
	v_fmac_f32_e32 v17, 0xbee1c552, v30
	v_fmac_f32_e32 v12, 0xbee1c552, v30
	v_sub_f32_e32 v8, v13, v19
	v_add_f32_e32 v15, v7, v28
	v_add_f32_e32 v13, v19, v13
	v_mul_u32_u24_e32 v19, 0x540, v20
	v_add_f32_e32 v4, v26, v16
	v_add_f32_e32 v6, v23, v14
	v_sub_f32_e32 v5, v21, v17
	v_add_f32_e32 v7, v12, v15
	v_sub_f32_e32 v12, v15, v12
	v_sub_f32_e32 v15, v14, v23
	v_add_f32_e32 v14, v17, v21
	v_sub_f32_e32 v17, v16, v26
	v_add_f32_e32 v16, v29, v24
	v_add3_u32 v19, 0, v19, v22
	v_sub_f32_e32 v3, v24, v29
	ds_write2_b64 v19, v[1:2], v[16:17] offset1:24
	ds_write2_b64 v19, v[14:15], v[12:13] offset0:48 offset1:72
	ds_write2_b64 v19, v[7:8], v[5:6] offset0:96 offset1:120
	ds_write_b64 v19, v[3:4] offset:1152
.LBB0_14:
	s_or_b64 exec, exec, s[2:3]
	s_waitcnt vmcnt(4)
	v_mov_b32_e32 v3, 0x206
	v_mad_legacy_u16 v3, v20, 37, v3
	v_lshrrev_b16_e32 v30, 8, v3
	v_mul_lo_u16_e32 v3, 7, v30
	v_sub_u16_e32 v3, v20, v3
	v_add_u16_e32 v3, 14, v3
	v_mul_lo_u16_e32 v1, 37, v20
	v_and_b32_e32 v31, 0xff, v3
	v_mov_b32_e32 v3, 0x40c
	v_lshrrev_b16_e32 v8, 8, v1
	s_waitcnt vmcnt(3)
	v_mad_legacy_u16 v5, v20, 37, v3
	v_mul_lo_u16_e32 v2, 7, v8
	v_lshrrev_b16_e32 v32, 8, v5
	v_sub_u16_e32 v29, v20, v2
	v_mov_b32_e32 v19, 3
	v_mul_lo_u16_e32 v5, 7, v32
	v_lshlrev_b32_sdwa v2, v19, v29 dst_sel:DWORD dst_unused:UNUSED_PAD src0_sel:DWORD src1_sel:BYTE_0
	v_sub_u16_e32 v5, v20, v5
	s_waitcnt vmcnt(0) lgkmcnt(0)
	s_barrier
	global_load_dwordx2 v[2:3], v2, s[20:21]
	v_add_u16_e32 v5, 28, v5
	v_lshlrev_b32_e32 v4, 3, v31
	v_and_b32_e32 v33, 0xff, v5
	global_load_dwordx2 v[4:5], v4, s[20:21]
	v_lshlrev_b32_e32 v6, 3, v33
	global_load_dwordx2 v[6:7], v6, s[20:21]
	v_mul_u32_u24_e32 v12, 0xc0, v20
	v_add3_u32 v21, 0, v12, v22
	s_movk_i32 s2, 0xc0
	ds_read_b64 v[12:13], v21
	ds_read_b64 v[14:15], v21 offset:2688
	ds_read_b64 v[16:17], v21 offset:8064
	;; [unrolled: 1-line block ×5, first 2 shown]
	v_mad_legacy_u16 v8, v8, 14, v29
	v_mad_u32_u24 v29, v30, 14, v31
	v_mad_u32_u24 v30, v32, 14, v33
	v_mul_u32_u24_sdwa v8, v8, s2 dst_sel:DWORD dst_unused:UNUSED_PAD src0_sel:BYTE_0 src1_sel:DWORD
	v_mul_u32_u24_e32 v29, 0xc0, v29
	v_mul_u32_u24_e32 v30, 0xc0, v30
	v_add3_u32 v8, 0, v8, v22
	v_add3_u32 v29, 0, v29, v22
	;; [unrolled: 1-line block ×3, first 2 shown]
	s_waitcnt vmcnt(0) lgkmcnt(0)
	s_barrier
	s_or_b64 s[0:1], vcc, s[0:1]
	v_mul_f32_e32 v30, v3, v17
	v_mul_f32_e32 v3, v3, v16
	v_fmac_f32_e32 v30, v2, v16
	v_fma_f32 v3, v2, v17, -v3
	v_sub_f32_e32 v2, v12, v30
	v_sub_f32_e32 v3, v13, v3
	v_mul_f32_e32 v16, v5, v26
	v_mul_f32_e32 v5, v5, v25
	;; [unrolled: 1-line block ×3, first 2 shown]
	v_fma_f32 v12, v12, 2.0, -v2
	v_fma_f32 v13, v13, 2.0, -v3
	v_mul_f32_e32 v7, v7, v27
	v_fmac_f32_e32 v16, v4, v25
	v_fma_f32 v4, v4, v26, -v5
	v_fmac_f32_e32 v17, v6, v27
	v_fma_f32 v5, v6, v28, -v7
	ds_write2_b64 v8, v[12:13], v[2:3] offset1:168
	v_sub_f32_e32 v2, v14, v16
	v_sub_f32_e32 v3, v15, v4
	;; [unrolled: 1-line block ×4, first 2 shown]
	v_fma_f32 v6, v14, 2.0, -v2
	v_fma_f32 v7, v15, 2.0, -v3
	;; [unrolled: 1-line block ×4, first 2 shown]
	ds_write2_b64 v29, v[6:7], v[2:3] offset1:168
	ds_write2_b64 v22, v[12:13], v[4:5] offset1:168
	s_waitcnt lgkmcnt(0)
	s_barrier
	s_and_saveexec_b64 s[2:3], s[0:1]
	s_cbranch_execz .LBB0_16
; %bb.15:
	v_lshrrev_b16_e32 v1, 9, v1
	v_mul_lo_u16_e32 v1, 14, v1
	v_sub_u16_e32 v1, v20, v1
	v_and_b32_e32 v20, 0xff, v1
	v_mul_u32_u24_e32 v1, 5, v20
	v_lshlrev_b32_e32 v22, 3, v1
	global_load_dwordx4 v[5:8], v22, s[20:21] offset:72
	global_load_dwordx4 v[1:4], v22, s[20:21] offset:56
	v_add_u32_e32 v23, 0x1500, v21
	v_add_u32_e32 v24, 0xa80, v21
	ds_read_b64 v[12:13], v21 offset:13440
	ds_read_b64 v[16:17], v21 offset:10752
	ds_read_b64 v[14:15], v21 offset:8064
	ds_read_b64 v[25:26], v21
	ds_read_b64 v[27:28], v23
	;; [unrolled: 1-line block ×3, first 2 shown]
	v_add_u32_e32 v21, 56, v20
	v_mul_lo_u32 v33, v11, v21
	v_add_u32_e32 v30, 0x46, v20
	v_add_u32_e32 v31, 28, v20
	v_mul_lo_u32 v35, v11, v30
	global_load_dwordx2 v[21:22], v22, s[20:21] offset:88
	v_add_u32_e32 v29, 42, v20
	v_mul_lo_u32 v36, v11, v31
	v_lshlrev_b32_sdwa v37, v19, v33 dst_sel:DWORD dst_unused:UNUSED_PAD src0_sel:DWORD src1_sel:BYTE_0
	v_mul_lo_u32 v34, v11, v29
	v_lshlrev_b32_sdwa v38, v19, v33 dst_sel:DWORD dst_unused:UNUSED_PAD src0_sel:DWORD src1_sel:BYTE_1
	global_load_dwordx2 v[29:30], v37, s[16:17]
	global_load_dwordx2 v[31:32], v38, s[16:17] offset:2048
	v_lshlrev_b32_sdwa v39, v19, v35 dst_sel:DWORD dst_unused:UNUSED_PAD src0_sel:DWORD src1_sel:BYTE_0
	v_lshlrev_b32_sdwa v40, v19, v35 dst_sel:DWORD dst_unused:UNUSED_PAD src0_sel:DWORD src1_sel:BYTE_1
	v_lshlrev_b32_sdwa v41, v19, v36 dst_sel:DWORD dst_unused:UNUSED_PAD src0_sel:DWORD src1_sel:BYTE_0
	v_lshlrev_b32_sdwa v42, v19, v36 dst_sel:DWORD dst_unused:UNUSED_PAD src0_sel:DWORD src1_sel:BYTE_1
	v_mov_b32_e32 v45, 0x1000
	s_waitcnt vmcnt(4) lgkmcnt(4)
	v_mul_f32_e32 v37, v8, v16
	v_mul_f32_e32 v38, v8, v17
	v_fma_f32 v37, v7, v17, -v37
	v_fmac_f32_e32 v38, v7, v16
	s_waitcnt lgkmcnt(3)
	v_mul_f32_e32 v7, v6, v14
	v_mul_f32_e32 v43, v6, v15
	v_fma_f32 v44, v5, v15, -v7
	v_fmac_f32_e32 v43, v5, v14
	global_load_dwordx2 v[5:6], v39, s[16:17]
	global_load_dwordx2 v[7:8], v40, s[16:17] offset:2048
	global_load_dwordx2 v[14:15], v41, s[16:17]
	global_load_dwordx2 v[16:17], v42, s[16:17] offset:2048
	s_waitcnt vmcnt(7) lgkmcnt(1)
	v_mul_f32_e32 v40, v4, v28
	v_mul_f32_e32 v39, v4, v27
	v_fmac_f32_e32 v40, v3, v27
	s_waitcnt lgkmcnt(0)
	v_mul_f32_e32 v27, v2, v24
	v_mul_f32_e32 v2, v2, v23
	v_fma_f32 v28, v3, v28, -v39
	v_fma_f32 v39, v1, v24, -v2
	v_lshlrev_b32_sdwa v24, v19, v34 dst_sel:DWORD dst_unused:UNUSED_PAD src0_sel:DWORD src1_sel:BYTE_1
	v_fmac_f32_e32 v27, v1, v23
	v_lshlrev_b32_sdwa v23, v19, v34 dst_sel:DWORD dst_unused:UNUSED_PAD src0_sel:DWORD src1_sel:BYTE_0
	global_load_dwordx2 v[1:2], v24, s[16:17] offset:2048
	global_load_dwordx2 v[3:4], v23, s[16:17]
	s_waitcnt vmcnt(8)
	v_mul_f32_e32 v23, v22, v12
	v_mul_f32_e32 v41, v22, v13
	v_fma_f32 v42, v21, v13, -v23
	v_fmac_f32_e32 v41, v21, v12
	v_bfe_u32 v21, v33, 16, 8
	v_lshl_or_b32 v33, v21, 3, v45
	s_waitcnt vmcnt(6)
	v_mul_f32_e32 v21, v30, v32
	v_mul_f32_e32 v32, v29, v32
	v_bfe_u32 v12, v34, 16, 8
	v_fmac_f32_e32 v32, v30, v31
	v_lshl_or_b32 v12, v12, 3, v45
	v_bfe_u32 v22, v35, 16, 8
	v_fma_f32 v29, v29, v31, -v21
	global_load_dwordx2 v[12:13], v12, s[16:17]
	v_lshl_or_b32 v34, v22, 3, v45
	global_load_dwordx2 v[21:22], v33, s[16:17]
	global_load_dwordx2 v[23:24], v34, s[16:17]
	s_waitcnt vmcnt(7)
	v_mul_f32_e32 v30, v6, v8
	v_mul_f32_e32 v31, v5, v8
	v_fma_f32 v30, v5, v7, -v30
	v_add_u32_e32 v5, 14, v20
	v_mul_lo_u32 v33, v11, v5
	v_fmac_f32_e32 v31, v6, v7
	v_bfe_u32 v5, v36, 16, 8
	s_waitcnt vmcnt(5)
	v_mul_f32_e32 v7, v15, v17
	v_mul_f32_e32 v17, v14, v17
	v_lshl_or_b32 v5, v5, 3, v45
	v_fma_f32 v34, v14, v16, -v7
	v_fmac_f32_e32 v17, v15, v16
	v_lshlrev_b32_sdwa v7, v19, v33 dst_sel:DWORD dst_unused:UNUSED_PAD src0_sel:DWORD src1_sel:BYTE_0
	s_waitcnt vmcnt(3)
	v_mul_f32_e32 v8, v4, v2
	v_mul_f32_e32 v16, v3, v2
	global_load_dwordx2 v[5:6], v5, s[16:17]
	v_fma_f32 v35, v3, v1, -v8
	v_fmac_f32_e32 v16, v4, v1
	v_lshlrev_b32_sdwa v8, v19, v33 dst_sel:DWORD dst_unused:UNUSED_PAD src0_sel:DWORD src1_sel:BYTE_1
	global_load_dwordx2 v[1:2], v7, s[16:17]
	global_load_dwordx2 v[3:4], v8, s[16:17] offset:2048
	v_bfe_u32 v14, v33, 16, 8
	v_mul_lo_u32 v11, v11, v20
	v_lshl_or_b32 v14, v14, 3, v45
	global_load_dwordx2 v[14:15], v14, s[16:17]
	v_bfe_u32 v7, v11, 16, 8
	v_lshl_or_b32 v7, v7, 3, v45
	global_load_dwordx2 v[7:8], v7, s[16:17]
	s_waitcnt vmcnt(2)
	v_mul_f32_e32 v33, v2, v4
	v_fma_f32 v33, v1, v3, -v33
	v_mul_f32_e32 v36, v1, v4
	v_mul_f32_e32 v1, v31, v24
	v_fmac_f32_e32 v36, v2, v3
	v_fma_f32 v3, v23, v30, -v1
	v_mul_f32_e32 v4, v30, v24
	v_mul_f32_e32 v1, v32, v22
	v_fmac_f32_e32 v4, v23, v31
	;; [unrolled: 4-line block ×3, first 2 shown]
	v_fma_f32 v21, v12, v35, -v1
	v_mov_b32_e32 v1, v10
	v_mad_u64_u32 v[1:2], s[0:1], s11, v18, v[1:2]
	v_mul_f32_e32 v13, v35, v13
	v_fmac_f32_e32 v13, v12, v16
	v_mul_f32_e32 v12, v17, v6
	v_add_f32_e32 v2, v44, v42
	v_fma_f32 v24, v5, v34, -v12
	v_mul_f32_e32 v18, v34, v6
	v_mov_b32_e32 v10, v1
	v_add_f32_e32 v1, v43, v41
	v_fma_f32 v12, -0.5, v2, v39
	v_fmac_f32_e32 v18, v5, v17
	v_fma_f32 v5, -0.5, v1, v27
	v_sub_f32_e32 v16, v43, v41
	v_mov_b32_e32 v2, v12
	v_sub_f32_e32 v6, v44, v42
	v_mov_b32_e32 v1, v5
	v_fmac_f32_e32 v2, 0xbf5db3d7, v16
	v_fmac_f32_e32 v1, 0x3f5db3d7, v6
	v_mul_f32_e32 v29, -0.5, v2
	v_mul_f32_e32 v30, 0xbf5db3d7, v2
	v_fmac_f32_e32 v29, 0x3f5db3d7, v1
	v_fmac_f32_e32 v30, -0.5, v1
	v_add_f32_e32 v1, v28, v37
	v_fma_f32 v31, -0.5, v1, v26
	v_add_f32_e32 v1, v40, v38
	v_fma_f32 v34, -0.5, v1, v25
	v_sub_f32_e32 v35, v28, v37
	v_mov_b32_e32 v45, v34
	v_sub_f32_e32 v17, v40, v38
	v_mov_b32_e32 v32, v31
	v_fmac_f32_e32 v45, 0x3f5db3d7, v35
	v_fmac_f32_e32 v32, 0xbf5db3d7, v17
	v_sub_f32_e32 v46, v45, v30
	v_sub_f32_e32 v1, v32, v29
	v_mul_f32_e32 v2, v46, v4
	v_fma_f32 v2, v1, v3, -v2
	v_mul_f32_e32 v1, v1, v4
	v_fmac_f32_e32 v12, 0x3f5db3d7, v16
	v_fmac_f32_e32 v1, v46, v3
	;; [unrolled: 1-line block ×5, first 2 shown]
	v_mul_f32_e32 v35, 0.5, v12
	v_mul_f32_e32 v46, 0xbf5db3d7, v12
	v_lshlrev_b32_sdwa v17, v19, v11 dst_sel:DWORD dst_unused:UNUSED_PAD src0_sel:DWORD src1_sel:BYTE_0
	v_fmac_f32_e32 v35, 0x3f5db3d7, v5
	v_fmac_f32_e32 v46, 0.5, v5
	v_lshlrev_b32_sdwa v19, v19, v11 dst_sel:DWORD dst_unused:UNUSED_PAD src0_sel:DWORD src1_sel:BYTE_1
	global_load_dwordx2 v[5:6], v17, s[16:17]
	global_load_dwordx2 v[11:12], v19, s[16:17] offset:2048
	v_sub_f32_e32 v16, v34, v46
	v_sub_f32_e32 v3, v31, v35
	v_mul_f32_e32 v4, v16, v22
	v_fma_f32 v4, v3, v23, -v4
	v_mul_f32_e32 v3, v3, v22
	v_fmac_f32_e32 v3, v16, v23
	v_add_f32_e32 v16, v26, v28
	v_add_f32_e32 v22, v16, v37
	;; [unrolled: 1-line block ×8, first 2 shown]
	v_sub_f32_e32 v19, v25, v26
	v_sub_f32_e32 v16, v22, v23
	v_mul_f32_e32 v17, v19, v13
	v_fma_f32 v17, v16, v21, -v17
	v_mul_f32_e32 v16, v16, v13
	v_fmac_f32_e32 v16, v19, v21
	v_add_f32_e32 v13, v32, v29
	v_add_f32_e32 v21, v45, v30
	v_mul_f32_e32 v19, v21, v18
	v_mul_f32_e32 v18, v13, v18
	v_fmac_f32_e32 v18, v21, v24
	s_waitcnt vmcnt(3)
	v_mul_f32_e32 v21, v36, v15
	v_mul_f32_e32 v15, v33, v15
	v_fma_f32 v19, v13, v24, -v19
	v_add_f32_e32 v24, v34, v46
	v_fmac_f32_e32 v15, v14, v36
	v_add_f32_e32 v13, v31, v35
	v_fma_f32 v21, v14, v33, -v21
	v_mul_f32_e32 v14, v24, v15
	s_movk_i32 s0, 0x187
	v_fma_f32 v14, v13, v21, -v14
	v_mul_f32_e32 v13, v13, v15
	v_mul_u32_u24_sdwa v0, v0, s0 dst_sel:DWORD dst_unused:UNUSED_PAD src0_sel:WORD_0 src1_sel:DWORD
	v_fmac_f32_e32 v13, v24, v21
	v_lshrrev_b32_e32 v0, 17, v0
	v_mul_lo_u16_e32 v0, 0x54, v0
	v_add_u32_e32 v20, v20, v0
	v_add_f32_e32 v15, v22, v23
	v_add_f32_e32 v22, v25, v26
	v_lshlrev_b64 v[9:10], 3, v[9:10]
	s_waitcnt vmcnt(0)
	v_mul_f32_e32 v21, v6, v12
	v_mul_f32_e32 v12, v5, v12
	v_fmac_f32_e32 v12, v6, v11
	v_fma_f32 v21, v5, v11, -v21
	v_mul_f32_e32 v5, v12, v8
	v_fma_f32 v11, v7, v21, -v5
	v_mad_u64_u32 v[5:6], s[0:1], s8, v20, 0
	v_mul_f32_e32 v21, v21, v8
	v_fmac_f32_e32 v21, v7, v12
	v_mov_b32_e32 v0, v6
	v_mad_u64_u32 v[6:7], s[0:1], s9, v20, v[0:1]
	s_lshl_b64 s[0:1], s[6:7], 3
	v_mul_f32_e32 v8, v22, v21
	s_add_u32 s2, s12, s0
	v_fma_f32 v8, v15, v11, -v8
	v_mul_f32_e32 v7, v15, v21
	s_addc_u32 s0, s13, s1
	v_add_u32_e32 v15, 14, v20
	v_fmac_f32_e32 v7, v22, v11
	v_mov_b32_e32 v0, s0
	v_mad_u64_u32 v[11:12], s[0:1], s8, v15, 0
	v_add_co_u32_e32 v21, vcc, s2, v9
	v_addc_co_u32_e32 v22, vcc, v0, v10, vcc
	v_mov_b32_e32 v0, v12
	v_mad_u64_u32 v[9:10], s[0:1], s9, v15, v[0:1]
	v_lshlrev_b64 v[5:6], 3, v[5:6]
	v_add_co_u32_e32 v5, vcc, v21, v5
	v_addc_co_u32_e32 v6, vcc, v22, v6, vcc
	v_mov_b32_e32 v12, v9
	v_add_u32_e32 v9, 28, v20
	global_store_dwordx2 v[5:6], v[7:8], off
	v_mad_u64_u32 v[7:8], s[0:1], s8, v9, 0
	v_lshlrev_b64 v[5:6], 3, v[11:12]
	v_add_u32_e32 v11, 42, v20
	v_mov_b32_e32 v0, v8
	v_mad_u64_u32 v[8:9], s[0:1], s9, v9, v[0:1]
	v_mad_u64_u32 v[9:10], s[0:1], s8, v11, 0
	v_add_co_u32_e32 v5, vcc, v21, v5
	v_addc_co_u32_e32 v6, vcc, v22, v6, vcc
	v_mov_b32_e32 v0, v10
	global_store_dwordx2 v[5:6], v[13:14], off
	v_lshlrev_b64 v[5:6], 3, v[7:8]
	v_mad_u64_u32 v[7:8], s[0:1], s9, v11, v[0:1]
	v_add_co_u32_e32 v5, vcc, v21, v5
	v_addc_co_u32_e32 v6, vcc, v22, v6, vcc
	v_mov_b32_e32 v10, v7
	global_store_dwordx2 v[5:6], v[18:19], off
	v_lshlrev_b64 v[5:6], 3, v[9:10]
	v_add_u32_e32 v9, 56, v20
	v_mad_u64_u32 v[7:8], s[0:1], s8, v9, 0
	v_add_u32_e32 v11, 0x46, v20
	v_add_co_u32_e32 v5, vcc, v21, v5
	v_mov_b32_e32 v0, v8
	v_mad_u64_u32 v[8:9], s[0:1], s9, v9, v[0:1]
	v_mad_u64_u32 v[9:10], s[0:1], s8, v11, 0
	v_addc_co_u32_e32 v6, vcc, v22, v6, vcc
	v_mov_b32_e32 v0, v10
	global_store_dwordx2 v[5:6], v[16:17], off
	v_lshlrev_b64 v[5:6], 3, v[7:8]
	v_mad_u64_u32 v[7:8], s[0:1], s9, v11, v[0:1]
	v_add_co_u32_e32 v5, vcc, v21, v5
	v_addc_co_u32_e32 v6, vcc, v22, v6, vcc
	v_mov_b32_e32 v10, v7
	global_store_dwordx2 v[5:6], v[3:4], off
	v_lshlrev_b64 v[3:4], 3, v[9:10]
	v_add_co_u32_e32 v3, vcc, v21, v3
	v_addc_co_u32_e32 v4, vcc, v22, v4, vcc
	global_store_dwordx2 v[3:4], v[1:2], off
.LBB0_16:
	s_endpgm
	.section	.rodata,"a",@progbits
	.p2align	6, 0x0
	.amdhsa_kernel fft_rtc_back_len84_factors_7_2_6_wgs_336_tpt_14_sp_ip_CI_sbcc_twdbase8_3step_dirReg_intrinsicRead
		.amdhsa_group_segment_fixed_size 0
		.amdhsa_private_segment_fixed_size 0
		.amdhsa_kernarg_size 96
		.amdhsa_user_sgpr_count 6
		.amdhsa_user_sgpr_private_segment_buffer 1
		.amdhsa_user_sgpr_dispatch_ptr 0
		.amdhsa_user_sgpr_queue_ptr 0
		.amdhsa_user_sgpr_kernarg_segment_ptr 1
		.amdhsa_user_sgpr_dispatch_id 0
		.amdhsa_user_sgpr_flat_scratch_init 0
		.amdhsa_user_sgpr_private_segment_size 0
		.amdhsa_uses_dynamic_stack 0
		.amdhsa_system_sgpr_private_segment_wavefront_offset 0
		.amdhsa_system_sgpr_workgroup_id_x 1
		.amdhsa_system_sgpr_workgroup_id_y 0
		.amdhsa_system_sgpr_workgroup_id_z 0
		.amdhsa_system_sgpr_workgroup_info 0
		.amdhsa_system_vgpr_workitem_id 0
		.amdhsa_next_free_vgpr 47
		.amdhsa_next_free_sgpr 45
		.amdhsa_reserve_vcc 1
		.amdhsa_reserve_flat_scratch 0
		.amdhsa_float_round_mode_32 0
		.amdhsa_float_round_mode_16_64 0
		.amdhsa_float_denorm_mode_32 3
		.amdhsa_float_denorm_mode_16_64 3
		.amdhsa_dx10_clamp 1
		.amdhsa_ieee_mode 1
		.amdhsa_fp16_overflow 0
		.amdhsa_exception_fp_ieee_invalid_op 0
		.amdhsa_exception_fp_denorm_src 0
		.amdhsa_exception_fp_ieee_div_zero 0
		.amdhsa_exception_fp_ieee_overflow 0
		.amdhsa_exception_fp_ieee_underflow 0
		.amdhsa_exception_fp_ieee_inexact 0
		.amdhsa_exception_int_div_zero 0
	.end_amdhsa_kernel
	.text
.Lfunc_end0:
	.size	fft_rtc_back_len84_factors_7_2_6_wgs_336_tpt_14_sp_ip_CI_sbcc_twdbase8_3step_dirReg_intrinsicRead, .Lfunc_end0-fft_rtc_back_len84_factors_7_2_6_wgs_336_tpt_14_sp_ip_CI_sbcc_twdbase8_3step_dirReg_intrinsicRead
                                        ; -- End function
	.section	.AMDGPU.csdata,"",@progbits
; Kernel info:
; codeLenInByte = 4636
; NumSgprs: 49
; NumVgprs: 47
; ScratchSize: 0
; MemoryBound: 0
; FloatMode: 240
; IeeeMode: 1
; LDSByteSize: 0 bytes/workgroup (compile time only)
; SGPRBlocks: 6
; VGPRBlocks: 11
; NumSGPRsForWavesPerEU: 49
; NumVGPRsForWavesPerEU: 47
; Occupancy: 5
; WaveLimiterHint : 1
; COMPUTE_PGM_RSRC2:SCRATCH_EN: 0
; COMPUTE_PGM_RSRC2:USER_SGPR: 6
; COMPUTE_PGM_RSRC2:TRAP_HANDLER: 0
; COMPUTE_PGM_RSRC2:TGID_X_EN: 1
; COMPUTE_PGM_RSRC2:TGID_Y_EN: 0
; COMPUTE_PGM_RSRC2:TGID_Z_EN: 0
; COMPUTE_PGM_RSRC2:TIDIG_COMP_CNT: 0
	.type	__hip_cuid_5dc7a6941a1281b6,@object ; @__hip_cuid_5dc7a6941a1281b6
	.section	.bss,"aw",@nobits
	.globl	__hip_cuid_5dc7a6941a1281b6
__hip_cuid_5dc7a6941a1281b6:
	.byte	0                               ; 0x0
	.size	__hip_cuid_5dc7a6941a1281b6, 1

	.ident	"AMD clang version 19.0.0git (https://github.com/RadeonOpenCompute/llvm-project roc-6.4.0 25133 c7fe45cf4b819c5991fe208aaa96edf142730f1d)"
	.section	".note.GNU-stack","",@progbits
	.addrsig
	.addrsig_sym __hip_cuid_5dc7a6941a1281b6
	.amdgpu_metadata
---
amdhsa.kernels:
  - .args:
      - .actual_access:  read_only
        .address_space:  global
        .offset:         0
        .size:           8
        .value_kind:     global_buffer
      - .address_space:  global
        .offset:         8
        .size:           8
        .value_kind:     global_buffer
      - .offset:         16
        .size:           8
        .value_kind:     by_value
      - .actual_access:  read_only
        .address_space:  global
        .offset:         24
        .size:           8
        .value_kind:     global_buffer
      - .actual_access:  read_only
        .address_space:  global
        .offset:         32
        .size:           8
        .value_kind:     global_buffer
      - .offset:         40
        .size:           8
        .value_kind:     by_value
      - .actual_access:  read_only
        .address_space:  global
        .offset:         48
        .size:           8
        .value_kind:     global_buffer
      - .actual_access:  read_only
        .address_space:  global
        .offset:         56
        .size:           8
        .value_kind:     global_buffer
      - .offset:         64
        .size:           4
        .value_kind:     by_value
      - .actual_access:  read_only
        .address_space:  global
        .offset:         72
        .size:           8
        .value_kind:     global_buffer
      - .actual_access:  read_only
        .address_space:  global
        .offset:         80
        .size:           8
        .value_kind:     global_buffer
      - .address_space:  global
        .offset:         88
        .size:           8
        .value_kind:     global_buffer
    .group_segment_fixed_size: 0
    .kernarg_segment_align: 8
    .kernarg_segment_size: 96
    .language:       OpenCL C
    .language_version:
      - 2
      - 0
    .max_flat_workgroup_size: 336
    .name:           fft_rtc_back_len84_factors_7_2_6_wgs_336_tpt_14_sp_ip_CI_sbcc_twdbase8_3step_dirReg_intrinsicRead
    .private_segment_fixed_size: 0
    .sgpr_count:     49
    .sgpr_spill_count: 0
    .symbol:         fft_rtc_back_len84_factors_7_2_6_wgs_336_tpt_14_sp_ip_CI_sbcc_twdbase8_3step_dirReg_intrinsicRead.kd
    .uniform_work_group_size: 1
    .uses_dynamic_stack: false
    .vgpr_count:     47
    .vgpr_spill_count: 0
    .wavefront_size: 64
amdhsa.target:   amdgcn-amd-amdhsa--gfx906
amdhsa.version:
  - 1
  - 2
...

	.end_amdgpu_metadata
